;; amdgpu-corpus repo=ROCm/rocFFT kind=compiled arch=gfx1030 opt=O3
	.text
	.amdgcn_target "amdgcn-amd-amdhsa--gfx1030"
	.amdhsa_code_object_version 6
	.protected	fft_rtc_back_len1680_factors_2_2_2_2_3_7_5_wgs_112_tpt_112_halfLds_sp_op_CI_CI_unitstride_sbrr_C2R_dirReg ; -- Begin function fft_rtc_back_len1680_factors_2_2_2_2_3_7_5_wgs_112_tpt_112_halfLds_sp_op_CI_CI_unitstride_sbrr_C2R_dirReg
	.globl	fft_rtc_back_len1680_factors_2_2_2_2_3_7_5_wgs_112_tpt_112_halfLds_sp_op_CI_CI_unitstride_sbrr_C2R_dirReg
	.p2align	8
	.type	fft_rtc_back_len1680_factors_2_2_2_2_3_7_5_wgs_112_tpt_112_halfLds_sp_op_CI_CI_unitstride_sbrr_C2R_dirReg,@function
fft_rtc_back_len1680_factors_2_2_2_2_3_7_5_wgs_112_tpt_112_halfLds_sp_op_CI_CI_unitstride_sbrr_C2R_dirReg: ; @fft_rtc_back_len1680_factors_2_2_2_2_3_7_5_wgs_112_tpt_112_halfLds_sp_op_CI_CI_unitstride_sbrr_C2R_dirReg
; %bb.0:
	s_clause 0x2
	s_load_dwordx4 s[12:15], s[4:5], 0x0
	s_load_dwordx4 s[8:11], s[4:5], 0x58
	;; [unrolled: 1-line block ×3, first 2 shown]
	v_mul_u32_u24_e32 v1, 0x24a, v0
	v_mov_b32_e32 v3, 0
	v_add_nc_u32_sdwa v5, s6, v1 dst_sel:DWORD dst_unused:UNUSED_PAD src0_sel:DWORD src1_sel:WORD_1
	v_mov_b32_e32 v1, 0
	v_mov_b32_e32 v6, v3
	v_mov_b32_e32 v2, 0
	s_waitcnt lgkmcnt(0)
	v_cmp_lt_u64_e64 s0, s[14:15], 2
	s_and_b32 vcc_lo, exec_lo, s0
	s_cbranch_vccnz .LBB0_8
; %bb.1:
	s_load_dwordx2 s[0:1], s[4:5], 0x10
	v_mov_b32_e32 v1, 0
	v_mov_b32_e32 v2, 0
	s_add_u32 s2, s18, 8
	s_addc_u32 s3, s19, 0
	s_add_u32 s6, s16, 8
	s_addc_u32 s7, s17, 0
	v_mov_b32_e32 v41, v2
	v_mov_b32_e32 v40, v1
	s_mov_b64 s[22:23], 1
	s_waitcnt lgkmcnt(0)
	s_add_u32 s20, s0, 8
	s_addc_u32 s21, s1, 0
.LBB0_2:                                ; =>This Inner Loop Header: Depth=1
	s_load_dwordx2 s[24:25], s[20:21], 0x0
                                        ; implicit-def: $vgpr44_vgpr45
	s_mov_b32 s0, exec_lo
	s_waitcnt lgkmcnt(0)
	v_or_b32_e32 v4, s25, v6
	v_cmpx_ne_u64_e32 0, v[3:4]
	s_xor_b32 s1, exec_lo, s0
	s_cbranch_execz .LBB0_4
; %bb.3:                                ;   in Loop: Header=BB0_2 Depth=1
	v_cvt_f32_u32_e32 v4, s24
	v_cvt_f32_u32_e32 v7, s25
	s_sub_u32 s0, 0, s24
	s_subb_u32 s26, 0, s25
	v_fmac_f32_e32 v4, 0x4f800000, v7
	v_rcp_f32_e32 v4, v4
	v_mul_f32_e32 v4, 0x5f7ffffc, v4
	v_mul_f32_e32 v7, 0x2f800000, v4
	v_trunc_f32_e32 v7, v7
	v_fmac_f32_e32 v4, 0xcf800000, v7
	v_cvt_u32_f32_e32 v7, v7
	v_cvt_u32_f32_e32 v4, v4
	v_mul_lo_u32 v8, s0, v7
	v_mul_hi_u32 v9, s0, v4
	v_mul_lo_u32 v10, s26, v4
	v_add_nc_u32_e32 v8, v9, v8
	v_mul_lo_u32 v9, s0, v4
	v_add_nc_u32_e32 v8, v8, v10
	v_mul_hi_u32 v10, v4, v9
	v_mul_lo_u32 v11, v4, v8
	v_mul_hi_u32 v12, v4, v8
	v_mul_hi_u32 v13, v7, v9
	v_mul_lo_u32 v9, v7, v9
	v_mul_hi_u32 v14, v7, v8
	v_mul_lo_u32 v8, v7, v8
	v_add_co_u32 v10, vcc_lo, v10, v11
	v_add_co_ci_u32_e32 v11, vcc_lo, 0, v12, vcc_lo
	v_add_co_u32 v9, vcc_lo, v10, v9
	v_add_co_ci_u32_e32 v9, vcc_lo, v11, v13, vcc_lo
	v_add_co_ci_u32_e32 v10, vcc_lo, 0, v14, vcc_lo
	v_add_co_u32 v8, vcc_lo, v9, v8
	v_add_co_ci_u32_e32 v9, vcc_lo, 0, v10, vcc_lo
	v_add_co_u32 v4, vcc_lo, v4, v8
	v_add_co_ci_u32_e32 v7, vcc_lo, v7, v9, vcc_lo
	v_mul_hi_u32 v8, s0, v4
	v_mul_lo_u32 v10, s26, v4
	v_mul_lo_u32 v9, s0, v7
	v_add_nc_u32_e32 v8, v8, v9
	v_mul_lo_u32 v9, s0, v4
	v_add_nc_u32_e32 v8, v8, v10
	v_mul_hi_u32 v10, v4, v9
	v_mul_lo_u32 v11, v4, v8
	v_mul_hi_u32 v12, v4, v8
	v_mul_hi_u32 v13, v7, v9
	v_mul_lo_u32 v9, v7, v9
	v_mul_hi_u32 v14, v7, v8
	v_mul_lo_u32 v8, v7, v8
	v_add_co_u32 v10, vcc_lo, v10, v11
	v_add_co_ci_u32_e32 v11, vcc_lo, 0, v12, vcc_lo
	v_add_co_u32 v9, vcc_lo, v10, v9
	v_add_co_ci_u32_e32 v9, vcc_lo, v11, v13, vcc_lo
	v_add_co_ci_u32_e32 v10, vcc_lo, 0, v14, vcc_lo
	v_add_co_u32 v8, vcc_lo, v9, v8
	v_add_co_ci_u32_e32 v9, vcc_lo, 0, v10, vcc_lo
	v_add_co_u32 v4, vcc_lo, v4, v8
	v_add_co_ci_u32_e32 v11, vcc_lo, v7, v9, vcc_lo
	v_mul_hi_u32 v13, v5, v4
	v_mad_u64_u32 v[9:10], null, v6, v4, 0
	v_mad_u64_u32 v[7:8], null, v5, v11, 0
	;; [unrolled: 1-line block ×3, first 2 shown]
	v_add_co_u32 v4, vcc_lo, v13, v7
	v_add_co_ci_u32_e32 v7, vcc_lo, 0, v8, vcc_lo
	v_add_co_u32 v4, vcc_lo, v4, v9
	v_add_co_ci_u32_e32 v4, vcc_lo, v7, v10, vcc_lo
	v_add_co_ci_u32_e32 v7, vcc_lo, 0, v12, vcc_lo
	v_add_co_u32 v4, vcc_lo, v4, v11
	v_add_co_ci_u32_e32 v9, vcc_lo, 0, v7, vcc_lo
	v_mul_lo_u32 v10, s25, v4
	v_mad_u64_u32 v[7:8], null, s24, v4, 0
	v_mul_lo_u32 v11, s24, v9
	v_sub_co_u32 v7, vcc_lo, v5, v7
	v_add3_u32 v8, v8, v11, v10
	v_sub_nc_u32_e32 v10, v6, v8
	v_subrev_co_ci_u32_e64 v10, s0, s25, v10, vcc_lo
	v_add_co_u32 v11, s0, v4, 2
	v_add_co_ci_u32_e64 v12, s0, 0, v9, s0
	v_sub_co_u32 v13, s0, v7, s24
	v_sub_co_ci_u32_e32 v8, vcc_lo, v6, v8, vcc_lo
	v_subrev_co_ci_u32_e64 v10, s0, 0, v10, s0
	v_cmp_le_u32_e32 vcc_lo, s24, v13
	v_cmp_eq_u32_e64 s0, s25, v8
	v_cndmask_b32_e64 v13, 0, -1, vcc_lo
	v_cmp_le_u32_e32 vcc_lo, s25, v10
	v_cndmask_b32_e64 v14, 0, -1, vcc_lo
	v_cmp_le_u32_e32 vcc_lo, s24, v7
	;; [unrolled: 2-line block ×3, first 2 shown]
	v_cndmask_b32_e64 v15, 0, -1, vcc_lo
	v_cmp_eq_u32_e32 vcc_lo, s25, v10
	v_cndmask_b32_e64 v7, v15, v7, s0
	v_cndmask_b32_e32 v10, v14, v13, vcc_lo
	v_add_co_u32 v13, vcc_lo, v4, 1
	v_add_co_ci_u32_e32 v14, vcc_lo, 0, v9, vcc_lo
	v_cmp_ne_u32_e32 vcc_lo, 0, v10
	v_cndmask_b32_e32 v8, v14, v12, vcc_lo
	v_cndmask_b32_e32 v10, v13, v11, vcc_lo
	v_cmp_ne_u32_e32 vcc_lo, 0, v7
	v_cndmask_b32_e32 v45, v9, v8, vcc_lo
	v_cndmask_b32_e32 v44, v4, v10, vcc_lo
.LBB0_4:                                ;   in Loop: Header=BB0_2 Depth=1
	s_andn2_saveexec_b32 s0, s1
	s_cbranch_execz .LBB0_6
; %bb.5:                                ;   in Loop: Header=BB0_2 Depth=1
	v_cvt_f32_u32_e32 v4, s24
	s_sub_i32 s1, 0, s24
	v_mov_b32_e32 v45, v3
	v_rcp_iflag_f32_e32 v4, v4
	v_mul_f32_e32 v4, 0x4f7ffffe, v4
	v_cvt_u32_f32_e32 v4, v4
	v_mul_lo_u32 v7, s1, v4
	v_mul_hi_u32 v7, v4, v7
	v_add_nc_u32_e32 v4, v4, v7
	v_mul_hi_u32 v4, v5, v4
	v_mul_lo_u32 v7, v4, s24
	v_add_nc_u32_e32 v8, 1, v4
	v_sub_nc_u32_e32 v7, v5, v7
	v_subrev_nc_u32_e32 v9, s24, v7
	v_cmp_le_u32_e32 vcc_lo, s24, v7
	v_cndmask_b32_e32 v7, v7, v9, vcc_lo
	v_cndmask_b32_e32 v4, v4, v8, vcc_lo
	v_cmp_le_u32_e32 vcc_lo, s24, v7
	v_add_nc_u32_e32 v8, 1, v4
	v_cndmask_b32_e32 v44, v4, v8, vcc_lo
.LBB0_6:                                ;   in Loop: Header=BB0_2 Depth=1
	s_or_b32 exec_lo, exec_lo, s0
	v_mul_lo_u32 v4, v45, s24
	v_mul_lo_u32 v9, v44, s25
	s_load_dwordx2 s[0:1], s[6:7], 0x0
	v_mad_u64_u32 v[7:8], null, v44, s24, 0
	s_load_dwordx2 s[24:25], s[2:3], 0x0
	s_add_u32 s22, s22, 1
	s_addc_u32 s23, s23, 0
	s_add_u32 s2, s2, 8
	s_addc_u32 s3, s3, 0
	s_add_u32 s6, s6, 8
	v_add3_u32 v4, v8, v9, v4
	v_sub_co_u32 v5, vcc_lo, v5, v7
	s_addc_u32 s7, s7, 0
	s_add_u32 s20, s20, 8
	v_sub_co_ci_u32_e32 v4, vcc_lo, v6, v4, vcc_lo
	s_addc_u32 s21, s21, 0
	s_waitcnt lgkmcnt(0)
	v_mul_lo_u32 v6, s0, v4
	v_mul_lo_u32 v7, s1, v5
	v_mad_u64_u32 v[1:2], null, s0, v5, v[1:2]
	v_mul_lo_u32 v4, s24, v4
	v_mul_lo_u32 v8, s25, v5
	v_mad_u64_u32 v[40:41], null, s24, v5, v[40:41]
	v_cmp_ge_u64_e64 s0, s[22:23], s[14:15]
	v_add3_u32 v2, v7, v2, v6
	v_add3_u32 v41, v8, v41, v4
	s_and_b32 vcc_lo, exec_lo, s0
	s_cbranch_vccnz .LBB0_9
; %bb.7:                                ;   in Loop: Header=BB0_2 Depth=1
	v_mov_b32_e32 v5, v44
	v_mov_b32_e32 v6, v45
	s_branch .LBB0_2
.LBB0_8:
	v_mov_b32_e32 v41, v2
	v_mov_b32_e32 v45, v6
	;; [unrolled: 1-line block ×4, first 2 shown]
.LBB0_9:
	s_load_dwordx2 s[0:1], s[4:5], 0x28
	v_mul_hi_u32 v3, 0x2492493, v0
	s_lshl_b64 s[4:5], s[14:15], 3
                                        ; implicit-def: $vgpr42
	s_add_u32 s2, s18, s4
	s_addc_u32 s3, s19, s5
	s_waitcnt lgkmcnt(0)
	v_cmp_gt_u64_e32 vcc_lo, s[0:1], v[44:45]
	v_cmp_le_u64_e64 s0, s[0:1], v[44:45]
	s_and_saveexec_b32 s1, s0
	s_xor_b32 s0, exec_lo, s1
; %bb.10:
	v_mul_u32_u24_e32 v1, 0x70, v3
                                        ; implicit-def: $vgpr3
	v_sub_nc_u32_e32 v42, v0, v1
                                        ; implicit-def: $vgpr0
                                        ; implicit-def: $vgpr1_vgpr2
; %bb.11:
	s_or_saveexec_b32 s1, s0
	s_load_dwordx2 s[2:3], s[2:3], 0x0
	s_xor_b32 exec_lo, exec_lo, s1
	s_cbranch_execz .LBB0_15
; %bb.12:
	s_add_u32 s4, s16, s4
	s_addc_u32 s5, s17, s5
	v_lshlrev_b64 v[1:2], 3, v[1:2]
	s_load_dwordx2 s[4:5], s[4:5], 0x0
	s_waitcnt lgkmcnt(0)
	v_mul_lo_u32 v6, s5, v44
	v_mul_lo_u32 v7, s4, v45
	v_mad_u64_u32 v[4:5], null, s4, v44, 0
	s_mov_b32 s4, exec_lo
	v_add3_u32 v5, v5, v7, v6
	v_mul_u32_u24_e32 v6, 0x70, v3
	v_lshlrev_b64 v[3:4], 3, v[4:5]
	v_sub_nc_u32_e32 v42, v0, v6
	v_lshlrev_b32_e32 v32, 3, v42
	v_add_co_u32 v0, s0, s8, v3
	v_add_co_ci_u32_e64 v3, s0, s9, v4, s0
	v_or_b32_e32 v4, 0x1c00, v32
	v_add_co_u32 v0, s0, v0, v1
	v_add_co_ci_u32_e64 v1, s0, v3, v2, s0
	v_add_co_u32 v2, s0, v0, v32
	v_add_co_ci_u32_e64 v3, s0, 0, v1, s0
	;; [unrolled: 2-line block ×9, first 2 shown]
	s_clause 0xe
	global_load_dwordx2 v[18:19], v[2:3], off
	global_load_dwordx2 v[20:21], v[2:3], off offset:896
	global_load_dwordx2 v[2:3], v[2:3], off offset:1792
	;; [unrolled: 1-line block ×9, first 2 shown]
	global_load_dwordx2 v[4:5], v[4:5], off
	global_load_dwordx2 v[10:11], v[10:11], off offset:1920
	global_load_dwordx2 v[30:31], v[14:15], off offset:512
	global_load_dwordx2 v[14:15], v[14:15], off offset:1408
	global_load_dwordx2 v[16:17], v[16:17], off offset:256
	v_add_nc_u32_e32 v32, 0, v32
	v_add_nc_u32_e32 v33, 0x400, v32
	;; [unrolled: 1-line block ×7, first 2 shown]
	s_waitcnt vmcnt(13)
	ds_write2_b64 v32, v[18:19], v[20:21] offset1:112
	s_waitcnt vmcnt(11)
	ds_write2_b64 v33, v[2:3], v[22:23] offset0:96 offset1:208
	s_waitcnt vmcnt(9)
	ds_write2_b64 v34, v[6:7], v[24:25] offset0:64 offset1:176
	;; [unrolled: 2-line block ×4, first 2 shown]
	ds_write2_b64 v37, v[28:29], v[12:13] offset0:96 offset1:208
	s_waitcnt vmcnt(1)
	ds_write2_b64 v38, v[30:31], v[14:15] offset0:64 offset1:176
	s_waitcnt vmcnt(0)
	ds_write_b64 v32, v[16:17] offset:12544
	v_cmpx_eq_u32_e32 0x6f, v42
	s_cbranch_execz .LBB0_14
; %bb.13:
	v_add_co_u32 v0, s0, 0x3000, v0
	v_add_co_ci_u32_e64 v1, s0, 0, v1, s0
	v_mov_b32_e32 v2, 0
	v_mov_b32_e32 v42, 0x6f
	global_load_dwordx2 v[0:1], v[0:1], off offset:1152
	s_waitcnt vmcnt(0)
	ds_write_b64 v2, v[0:1] offset:13440
.LBB0_14:
	s_or_b32 exec_lo, exec_lo, s4
.LBB0_15:
	s_or_b32 exec_lo, exec_lo, s1
	v_lshlrev_b32_e32 v0, 3, v42
	s_waitcnt lgkmcnt(0)
	s_barrier
	buffer_gl0_inv
	s_add_u32 s1, s12, 0x3470
	v_add_nc_u32_e32 v50, 0, v0
	v_sub_nc_u32_e32 v4, 0, v0
	s_addc_u32 s4, s13, 0
	s_mov_b32 s5, exec_lo
                                        ; implicit-def: $vgpr0_vgpr1
	ds_read_b32 v5, v50
	ds_read_b32 v6, v4 offset:13440
	s_waitcnt lgkmcnt(0)
	v_add_f32_e32 v2, v6, v5
	v_sub_f32_e32 v3, v5, v6
	v_cmpx_ne_u32_e32 0, v42
	s_xor_b32 s5, exec_lo, s5
	s_cbranch_execz .LBB0_17
; %bb.16:
	v_mov_b32_e32 v43, 0
	v_add_f32_e32 v7, v6, v5
	v_sub_f32_e32 v8, v5, v6
	v_lshlrev_b64 v[0:1], 3, v[42:43]
	v_add_co_u32 v0, s0, s1, v0
	v_add_co_ci_u32_e64 v1, s0, s4, v1, s0
	global_load_dwordx2 v[0:1], v[0:1], off
	ds_read_b32 v2, v4 offset:13444
	ds_read_b32 v3, v50 offset:4
	s_waitcnt lgkmcnt(0)
	v_add_f32_e32 v9, v2, v3
	v_sub_f32_e32 v2, v3, v2
	s_waitcnt vmcnt(0)
	v_fma_f32 v5, -v8, v1, v7
	v_fma_f32 v6, v9, v1, -v2
	v_fma_f32 v10, v8, v1, v7
	v_fma_f32 v3, v9, v1, v2
	v_fmac_f32_e32 v5, v0, v9
	v_fmac_f32_e32 v6, v8, v0
	v_fma_f32 v2, -v0, v9, v10
	v_fmac_f32_e32 v3, v8, v0
	v_mov_b32_e32 v0, v42
	v_mov_b32_e32 v1, v43
	ds_write_b64 v4, v[5:6] offset:13440
.LBB0_17:
	s_andn2_saveexec_b32 s0, s5
	s_cbranch_execz .LBB0_19
; %bb.18:
	v_mov_b32_e32 v7, 0
	ds_read_b64 v[0:1], v7 offset:6720
	s_waitcnt lgkmcnt(0)
	v_add_f32_e32 v5, v0, v0
	v_mul_f32_e32 v6, -2.0, v1
	v_mov_b32_e32 v0, 0
	v_mov_b32_e32 v1, 0
	ds_write_b64 v7, v[5:6] offset:6720
.LBB0_19:
	s_or_b32 exec_lo, exec_lo, s0
	v_lshlrev_b64 v[0:1], 3, v[0:1]
	v_add_co_u32 v0, s0, s1, v0
	v_add_co_ci_u32_e64 v1, s0, s4, v1, s0
	s_clause 0x1
	global_load_dwordx2 v[5:6], v[0:1], off offset:896
	global_load_dwordx2 v[7:8], v[0:1], off offset:1792
	v_add_co_u32 v9, s0, 0x800, v0
	v_add_co_ci_u32_e64 v10, s0, 0, v1, s0
	s_clause 0x1
	global_load_dwordx2 v[11:12], v[9:10], off offset:640
	global_load_dwordx2 v[9:10], v[9:10], off offset:1536
	;; [unrolled: 5-line block ×3, first 2 shown]
	ds_write_b64 v50, v[2:3]
	ds_read_b64 v[2:3], v50 offset:896
	ds_read_b64 v[17:18], v4 offset:12544
	v_cmp_gt_u32_e64 s0, 56, v42
	s_waitcnt lgkmcnt(0)
	v_add_f32_e32 v19, v2, v17
	v_add_f32_e32 v20, v18, v3
	v_sub_f32_e32 v21, v2, v17
	v_sub_f32_e32 v2, v3, v18
	s_waitcnt vmcnt(5)
	v_fma_f32 v22, v21, v6, v19
	v_fma_f32 v3, v20, v6, v2
	v_fma_f32 v17, -v21, v6, v19
	v_fma_f32 v18, v20, v6, -v2
	v_fma_f32 v2, -v5, v20, v22
	v_fmac_f32_e32 v3, v21, v5
	v_fmac_f32_e32 v17, v5, v20
	v_fmac_f32_e32 v18, v21, v5
	ds_write_b64 v50, v[2:3] offset:896
	ds_write_b64 v4, v[17:18] offset:12544
	ds_read_b64 v[2:3], v50 offset:1792
	ds_read_b64 v[5:6], v4 offset:11648
	s_waitcnt lgkmcnt(0)
	v_add_f32_e32 v17, v2, v5
	v_add_f32_e32 v18, v6, v3
	v_sub_f32_e32 v19, v2, v5
	v_sub_f32_e32 v2, v3, v6
	s_waitcnt vmcnt(4)
	v_fma_f32 v20, v19, v8, v17
	v_fma_f32 v3, v18, v8, v2
	v_fma_f32 v5, -v19, v8, v17
	v_fma_f32 v6, v18, v8, -v2
	v_fma_f32 v2, -v7, v18, v20
	v_fmac_f32_e32 v3, v19, v7
	v_fmac_f32_e32 v5, v7, v18
	v_fmac_f32_e32 v6, v19, v7
	ds_write_b64 v50, v[2:3] offset:1792
	ds_write_b64 v4, v[5:6] offset:11648
	ds_read_b64 v[2:3], v50 offset:2688
	ds_read_b64 v[5:6], v4 offset:10752
	;; [unrolled: 18-line block ×5, first 2 shown]
	s_waitcnt lgkmcnt(0)
	v_add_f32_e32 v7, v2, v5
	v_add_f32_e32 v8, v6, v3
	v_sub_f32_e32 v9, v2, v5
	v_sub_f32_e32 v2, v3, v6
	s_waitcnt vmcnt(0)
	v_fma_f32 v10, v9, v14, v7
	v_fma_f32 v3, v8, v14, v2
	v_fma_f32 v5, -v9, v14, v7
	v_fma_f32 v6, v8, v14, -v2
	v_fma_f32 v2, -v13, v8, v10
	v_fmac_f32_e32 v3, v9, v13
	v_fmac_f32_e32 v5, v13, v8
	;; [unrolled: 1-line block ×3, first 2 shown]
	ds_write_b64 v50, v[2:3] offset:5376
	ds_write_b64 v4, v[5:6] offset:8064
	s_and_saveexec_b32 s4, s0
	s_cbranch_execz .LBB0_21
; %bb.20:
	v_add_co_u32 v0, s1, 0x1800, v0
	v_add_co_ci_u32_e64 v1, s1, 0, v1, s1
	global_load_dwordx2 v[0:1], v[0:1], off offset:128
	ds_read_b64 v[2:3], v50 offset:6272
	ds_read_b64 v[5:6], v4 offset:7168
	s_waitcnt lgkmcnt(0)
	v_add_f32_e32 v7, v2, v5
	v_add_f32_e32 v8, v6, v3
	v_sub_f32_e32 v9, v2, v5
	v_sub_f32_e32 v3, v3, v6
	s_waitcnt vmcnt(0)
	v_fma_f32 v10, v9, v1, v7
	v_fma_f32 v2, v8, v1, v3
	v_fma_f32 v5, -v9, v1, v7
	v_fma_f32 v6, v8, v1, -v3
	v_fma_f32 v1, -v0, v8, v10
	v_fmac_f32_e32 v2, v9, v0
	v_fmac_f32_e32 v5, v0, v8
	;; [unrolled: 1-line block ×3, first 2 shown]
	ds_write_b64 v50, v[1:2] offset:6272
	ds_write_b64 v4, v[5:6] offset:7168
.LBB0_21:
	s_or_b32 exec_lo, exec_lo, s4
	v_add_nc_u32_e32 v0, 0x1800, v50
	v_add_nc_u32_e32 v4, 0x400, v50
	s_waitcnt lgkmcnt(0)
	s_barrier
	buffer_gl0_inv
	s_barrier
	buffer_gl0_inv
	ds_read2_b64 v[9:12], v50 offset1:112
	ds_read2_b64 v[13:16], v0 offset0:72 offset1:184
	v_add_nc_u32_e32 v0, 0x2000, v50
	ds_read2_b64 v[21:24], v4 offset0:96 offset1:208
	ds_read2_b64 v[25:28], v0 offset0:40 offset1:152
	v_add_nc_u32_e32 v8, 0xc00, v50
	v_add_nc_u32_e32 v0, 0x1400, v50
	;; [unrolled: 1-line block ×4, first 2 shown]
	ds_read2_b64 v[35:38], v8 offset0:64 offset1:176
	ds_read2_b64 v[52:55], v20 offset0:8 offset1:120
	;; [unrolled: 1-line block ×4, first 2 shown]
	v_add_nc_u32_e32 v51, 0x70, v42
	v_add_nc_u32_e32 v43, 0xe0, v42
	v_lshl_add_u32 v3, v42, 3, v50
	v_add_nc_u32_e32 v33, 0x150, v42
	v_add_nc_u32_e32 v32, 0x1c0, v42
	v_lshl_add_u32 v7, v51, 4, 0
	s_waitcnt lgkmcnt(6)
	v_sub_f32_e32 v1, v9, v13
	v_sub_f32_e32 v2, v10, v14
	;; [unrolled: 1-line block ×4, first 2 shown]
	v_add_nc_u32_e32 v34, 0x230, v42
	v_fma_f32 v5, v9, 2.0, -v1
	s_waitcnt lgkmcnt(4)
	v_sub_f32_e32 v9, v21, v25
	v_fma_f32 v6, v10, 2.0, -v2
	v_sub_f32_e32 v10, v22, v26
	v_fma_f32 v11, v11, 2.0, -v13
	v_fma_f32 v12, v12, 2.0, -v14
	v_sub_f32_e32 v17, v23, v27
	v_sub_f32_e32 v18, v24, v28
	s_waitcnt lgkmcnt(0)
	v_sub_f32_e32 v30, v58, v62
	v_sub_f32_e32 v31, v59, v63
	v_fma_f32 v15, v21, 2.0, -v9
	v_fma_f32 v16, v22, 2.0, -v10
	v_sub_f32_e32 v21, v35, v52
	v_sub_f32_e32 v22, v36, v53
	;; [unrolled: 1-line block ×4, first 2 shown]
	v_add_nc_u32_e32 v46, 0x2a0, v42
	v_sub_f32_e32 v48, v56, v60
	v_sub_f32_e32 v49, v57, v61
	v_add_nc_u32_e32 v47, 0x310, v42
	v_fma_f32 v28, v58, 2.0, -v30
	v_fma_f32 v29, v59, 2.0, -v31
	s_barrier
	buffer_gl0_inv
	ds_write2_b64 v3, v[5:6], v[1:2] offset1:1
	ds_write2_b64 v7, v[11:12], v[13:14] offset1:1
	v_lshl_add_u32 v1, v43, 4, 0
	v_fma_f32 v23, v23, 2.0, -v17
	v_fma_f32 v24, v24, 2.0, -v18
	v_lshl_add_u32 v2, v33, 4, 0
	v_fma_f32 v35, v35, 2.0, -v21
	v_fma_f32 v36, v36, 2.0, -v22
	;; [unrolled: 3-line block ×4, first 2 shown]
	v_lshl_add_u32 v6, v46, 4, 0
	ds_write2_b64 v1, v[15:16], v[9:10] offset1:1
	ds_write2_b64 v2, v[23:24], v[17:18] offset1:1
	;; [unrolled: 1-line block ×5, first 2 shown]
	s_and_saveexec_b32 s1, s0
	s_cbranch_execz .LBB0_23
; %bb.22:
	v_lshl_add_u32 v1, v47, 4, 0
	ds_write2_b64 v1, v[28:29], v[30:31] offset1:1
.LBB0_23:
	s_or_b32 exec_lo, exec_lo, s1
	v_add_nc_u32_e32 v5, 0x1c00, v50
	v_add_nc_u32_e32 v9, 0x2400, v50
	s_waitcnt lgkmcnt(0)
	s_barrier
	buffer_gl0_inv
	ds_read2_b64 v[12:15], v50 offset1:112
	ds_read2_b64 v[0:3], v0 offset0:32 offset1:200
	ds_read2_b64 v[24:27], v5 offset0:56 offset1:168
	;; [unrolled: 1-line block ×6, first 2 shown]
	v_lshlrev_b32_e32 v39, 1, v51
	v_lshlrev_b32_e32 v38, 1, v43
	;; [unrolled: 1-line block ×6, first 2 shown]
	s_and_saveexec_b32 s1, s0
	s_cbranch_execz .LBB0_25
; %bb.24:
	ds_read_b64 v[28:29], v50 offset:6272
	ds_read_b64 v[30:31], v50 offset:12992
.LBB0_25:
	s_or_b32 exec_lo, exec_lo, s1
	v_and_b32_e32 v49, 1, v42
	v_lshlrev_b32_e32 v48, 1, v47
	v_lshlrev_b32_e32 v46, 3, v49
	v_and_or_b32 v54, 0x1fc, v39, v49
	v_and_or_b32 v55, 0x3fc, v38, v49
	;; [unrolled: 1-line block ×4, first 2 shown]
	global_load_dwordx2 v[52:53], v46, s[12:13]
	v_lshlrev_b32_e32 v46, 1, v42
	v_and_or_b32 v58, 0x5fc, v35, v49
	v_and_or_b32 v59, 0x7fc, v34, v49
	v_lshl_add_u32 v54, v54, 3, 0
	v_lshl_add_u32 v55, v55, 3, 0
	v_and_or_b32 v47, 0xfc, v46, v49
	v_lshl_add_u32 v56, v56, 3, 0
	v_lshl_add_u32 v57, v57, 3, 0
	s_waitcnt vmcnt(0) lgkmcnt(0)
	s_barrier
	v_lshl_add_u32 v47, v47, 3, 0
	buffer_gl0_inv
	v_lshl_add_u32 v58, v58, 3, 0
	v_lshl_add_u32 v59, v59, 3, 0
	v_mul_f32_e32 v60, v53, v3
	v_mul_f32_e32 v61, v53, v2
	;; [unrolled: 1-line block ×16, first 2 shown]
	v_fmac_f32_e32 v60, v52, v2
	v_fma_f32 v3, v52, v3, -v61
	v_fmac_f32_e32 v62, v52, v24
	v_fmac_f32_e32 v74, v30, v52
	v_fma_f32 v31, v31, v52, -v53
	v_fma_f32 v24, v52, v25, -v63
	v_fmac_f32_e32 v64, v52, v26
	v_fma_f32 v25, v52, v27, -v65
	v_fmac_f32_e32 v66, v52, v16
	;; [unrolled: 2-line block ×5, first 2 shown]
	v_fma_f32 v63, v52, v23, -v73
	v_sub_f32_e32 v2, v12, v60
	v_sub_f32_e32 v3, v13, v3
	;; [unrolled: 1-line block ×16, first 2 shown]
	v_fma_f32 v12, v12, 2.0, -v2
	v_fma_f32 v13, v13, 2.0, -v3
	;; [unrolled: 1-line block ×16, first 2 shown]
	ds_write2_b64 v47, v[12:13], v[2:3] offset1:2
	ds_write2_b64 v54, v[14:15], v[16:17] offset1:2
	;; [unrolled: 1-line block ×7, first 2 shown]
	s_and_saveexec_b32 s1, s0
	s_cbranch_execz .LBB0_27
; %bb.26:
	v_and_or_b32 v0, 0x6fc, v48, v49
	v_lshl_add_u32 v0, v0, 3, 0
	ds_write2_b64 v0, v[28:29], v[30:31] offset1:2
.LBB0_27:
	s_or_b32 exec_lo, exec_lo, s1
	v_add_nc_u32_e32 v8, 0x1c00, v50
	v_add_nc_u32_e32 v0, 0x1400, v50
	;; [unrolled: 1-line block ×6, first 2 shown]
	s_waitcnt lgkmcnt(0)
	s_barrier
	buffer_gl0_inv
	ds_read2_b64 v[4:7], v50 offset1:112
	ds_read2_b64 v[0:3], v0 offset0:32 offset1:200
	ds_read2_b64 v[24:27], v8 offset0:56 offset1:168
	;; [unrolled: 1-line block ×6, first 2 shown]
	s_and_saveexec_b32 s1, s0
	s_cbranch_execz .LBB0_29
; %bb.28:
	ds_read_b64 v[28:29], v50 offset:6272
	ds_read_b64 v[30:31], v50 offset:12992
.LBB0_29:
	s_or_b32 exec_lo, exec_lo, s1
	v_and_b32_e32 v47, 3, v42
	v_lshlrev_b32_e32 v49, 3, v47
	v_and_or_b32 v54, 0x1f8, v39, v47
	v_and_or_b32 v55, 0x3f8, v38, v47
	;; [unrolled: 1-line block ×4, first 2 shown]
	global_load_dwordx2 v[52:53], v49, s[12:13] offset:16
	v_and_or_b32 v49, 0xf8, v46, v47
	v_and_or_b32 v58, 0x5f8, v35, v47
	;; [unrolled: 1-line block ×3, first 2 shown]
	v_lshl_add_u32 v54, v54, 3, 0
	v_lshl_add_u32 v55, v55, 3, 0
	;; [unrolled: 1-line block ×5, first 2 shown]
	s_waitcnt vmcnt(0) lgkmcnt(0)
	s_barrier
	buffer_gl0_inv
	v_lshl_add_u32 v58, v58, 3, 0
	v_lshl_add_u32 v59, v59, 3, 0
	v_mul_f32_e32 v60, v53, v3
	v_mul_f32_e32 v61, v53, v2
	;; [unrolled: 1-line block ×16, first 2 shown]
	v_fmac_f32_e32 v60, v52, v2
	v_fma_f32 v3, v52, v3, -v61
	v_fmac_f32_e32 v62, v52, v24
	v_fmac_f32_e32 v74, v30, v52
	v_fma_f32 v31, v31, v52, -v53
	v_fma_f32 v24, v52, v25, -v63
	v_fmac_f32_e32 v64, v52, v26
	v_fma_f32 v25, v52, v27, -v65
	v_fmac_f32_e32 v66, v52, v20
	;; [unrolled: 2-line block ×5, first 2 shown]
	v_fma_f32 v27, v52, v19, -v73
	v_sub_f32_e32 v2, v4, v60
	v_sub_f32_e32 v3, v5, v3
	;; [unrolled: 1-line block ×16, first 2 shown]
	v_fma_f32 v4, v4, 2.0, -v2
	v_fma_f32 v5, v5, 2.0, -v3
	;; [unrolled: 1-line block ×16, first 2 shown]
	ds_write2_b64 v49, v[4:5], v[2:3] offset1:4
	ds_write2_b64 v54, v[6:7], v[16:17] offset1:4
	;; [unrolled: 1-line block ×7, first 2 shown]
	s_and_saveexec_b32 s1, s0
	s_cbranch_execz .LBB0_31
; %bb.30:
	v_and_or_b32 v0, 0x6f8, v48, v47
	v_lshl_add_u32 v0, v0, 3, 0
	ds_write2_b64 v0, v[28:29], v[30:31] offset1:4
.LBB0_31:
	s_or_b32 exec_lo, exec_lo, s1
	v_add_nc_u32_e32 v8, 0x1c00, v50
	v_add_nc_u32_e32 v0, 0x1400, v50
	;; [unrolled: 1-line block ×6, first 2 shown]
	s_waitcnt lgkmcnt(0)
	s_barrier
	buffer_gl0_inv
	ds_read2_b64 v[4:7], v50 offset1:112
	ds_read2_b64 v[0:3], v0 offset0:32 offset1:200
	ds_read2_b64 v[24:27], v8 offset0:56 offset1:168
	ds_read2_b64 v[12:15], v9 offset0:96 offset1:208
	ds_read2_b64 v[20:23], v10 offset0:24 offset1:136
	ds_read2_b64 v[8:11], v11 offset0:64 offset1:176
	ds_read2_b64 v[16:19], v16 offset0:120 offset1:232
	s_and_saveexec_b32 s1, s0
	s_cbranch_execz .LBB0_33
; %bb.32:
	ds_read_b64 v[28:29], v50 offset:6272
	ds_read_b64 v[30:31], v50 offset:12992
.LBB0_33:
	s_or_b32 exec_lo, exec_lo, s1
	v_and_b32_e32 v49, 7, v42
	v_lshlrev_b32_e32 v47, 3, v49
	v_and_or_b32 v46, 0xf0, v46, v49
	v_and_or_b32 v39, 0x1f0, v39, v49
	;; [unrolled: 1-line block ×4, first 2 shown]
	global_load_dwordx2 v[52:53], v47, s[12:13] offset:48
	v_lshl_add_u32 v54, v46, 3, 0
	v_and_or_b32 v36, 0x7f0, v36, v49
	v_and_or_b32 v35, 0x5f0, v35, v49
	;; [unrolled: 1-line block ×3, first 2 shown]
	v_lshl_add_u32 v39, v39, 3, 0
	v_lshl_add_u32 v38, v38, 3, 0
	;; [unrolled: 1-line block ×4, first 2 shown]
	s_waitcnt vmcnt(0) lgkmcnt(0)
	s_barrier
	buffer_gl0_inv
	v_lshl_add_u32 v35, v35, 3, 0
	v_lshl_add_u32 v34, v34, 3, 0
	v_mul_f32_e32 v46, v53, v3
	v_mul_f32_e32 v47, v53, v2
	;; [unrolled: 1-line block ×16, first 2 shown]
	v_fmac_f32_e32 v46, v52, v2
	v_fma_f32 v3, v52, v3, -v47
	v_fmac_f32_e32 v55, v52, v24
	v_fma_f32 v24, v52, v25, -v56
	;; [unrolled: 2-line block ×8, first 2 shown]
	v_sub_f32_e32 v2, v4, v46
	v_sub_f32_e32 v3, v5, v3
	;; [unrolled: 1-line block ×16, first 2 shown]
	v_fma_f32 v4, v4, 2.0, -v2
	v_fma_f32 v5, v5, 2.0, -v3
	;; [unrolled: 1-line block ×14, first 2 shown]
	ds_write2_b64 v54, v[4:5], v[2:3] offset1:8
	ds_write2_b64 v39, v[6:7], v[16:17] offset1:8
	;; [unrolled: 1-line block ×7, first 2 shown]
	s_and_saveexec_b32 s1, s0
	s_cbranch_execz .LBB0_35
; %bb.34:
	v_and_or_b32 v0, 0x6f0, v48, v49
	v_fma_f32 v1, v29, 2.0, -v47
	v_lshl_add_u32 v2, v0, 3, 0
	v_fma_f32 v0, v28, 2.0, -v46
	ds_write2_b64 v2, v[0:1], v[46:47] offset1:8
.LBB0_35:
	s_or_b32 exec_lo, exec_lo, s1
	v_and_b32_e32 v36, 15, v42
	s_waitcnt lgkmcnt(0)
	s_barrier
	buffer_gl0_inv
	v_add_nc_u32_e32 v48, 0xc00, v50
	v_lshlrev_b32_e32 v0, 4, v36
	v_add_nc_u32_e32 v12, 0x2000, v50
	v_add_nc_u32_e32 v49, 0x1400, v50
	;; [unrolled: 1-line block ×4, first 2 shown]
	global_load_dwordx4 v[4:7], v0, s[12:13] offset:112
	v_add_nc_u32_e32 v28, 0x1800, v50
	ds_read2_b64 v[8:11], v50 offset1:112
	ds_read_b64 v[34:35], v50 offset:12544
	ds_read2_b64 v[0:3], v48 offset0:64 offset1:176
	ds_read2_b64 v[12:15], v12 offset0:96 offset1:208
	;; [unrolled: 1-line block ×6, first 2 shown]
	v_lshrrev_b32_e32 v38, 4, v42
	v_lshrrev_b32_e32 v39, 4, v51
	;; [unrolled: 1-line block ×5, first 2 shown]
	v_mul_u32_u24_e32 v38, 48, v38
	v_mul_u32_u24_e32 v39, 48, v39
	;; [unrolled: 1-line block ×5, first 2 shown]
	v_or_b32_e32 v38, v38, v36
	v_or_b32_e32 v39, v39, v36
	;; [unrolled: 1-line block ×5, first 2 shown]
	v_lshl_add_u32 v36, v38, 3, 0
	v_lshl_add_u32 v38, v39, 3, 0
	;; [unrolled: 1-line block ×3, first 2 shown]
	v_add_nc_u32_e32 v53, 0x1c00, v50
	v_lshl_add_u32 v33, v33, 3, 0
	v_lshl_add_u32 v32, v32, 3, 0
	v_add_nc_u32_e32 v54, 0x2400, v50
	v_add_nc_u32_e32 v55, 0x2c00, v50
	s_waitcnt vmcnt(0) lgkmcnt(0)
	s_barrier
	buffer_gl0_inv
	v_cmp_gt_u32_e64 s0, 16, v42
	v_mul_f32_e32 v52, v5, v3
	v_mul_f32_e32 v56, v5, v2
	;; [unrolled: 1-line block ×20, first 2 shown]
	v_fmac_f32_e32 v52, v4, v2
	v_fma_f32 v2, v4, v3, -v56
	v_fmac_f32_e32 v57, v6, v12
	v_fma_f32 v3, v6, v13, -v58
	;; [unrolled: 2-line block ×10, first 2 shown]
	v_add_f32_e32 v5, v8, v52
	v_add_f32_e32 v6, v52, v57
	;; [unrolled: 1-line block ×4, first 2 shown]
	v_sub_f32_e32 v28, v12, v13
	v_add_f32_e32 v29, v11, v12
	v_add_f32_e32 v12, v12, v13
	;; [unrolled: 1-line block ×3, first 2 shown]
	v_sub_f32_e32 v25, v52, v57
	v_add_f32_e32 v26, v10, v59
	v_sub_f32_e32 v30, v59, v61
	v_add_f32_e32 v34, v63, v65
	;; [unrolled: 2-line block ×3, first 2 shown]
	v_add_f32_e32 v14, v14, v15
	v_add_f32_e32 v59, v67, v69
	v_sub_f32_e32 v60, v16, v17
	v_add_f32_e32 v62, v23, v16
	v_add_f32_e32 v16, v16, v17
	;; [unrolled: 1-line block ×4, first 2 shown]
	v_sub_f32_e32 v19, v2, v3
	v_add_f32_e32 v31, v20, v63
	v_sub_f32_e32 v56, v63, v65
	v_add_f32_e32 v58, v22, v67
	v_sub_f32_e32 v63, v67, v69
	v_sub_f32_e32 v67, v4, v18
	v_add_f32_e32 v68, v1, v4
	v_add_f32_e32 v2, v5, v57
	v_fma_f32 v4, -0.5, v6, v8
	v_fma_f32 v5, -0.5, v24, v9
	;; [unrolled: 1-line block ×3, first 2 shown]
	v_fmac_f32_e32 v11, -0.5, v12
	v_add_f32_e32 v64, v0, v71
	v_sub_f32_e32 v71, v71, v72
	v_add_f32_e32 v3, v7, v3
	v_add_f32_e32 v7, v29, v13
	v_fma_f32 v12, -0.5, v34, v20
	v_fma_f32 v13, -0.5, v14, v21
	;; [unrolled: 1-line block ×3, first 2 shown]
	v_fmac_f32_e32 v23, -0.5, v16
	v_fma_f32 v0, -0.5, v66, v0
	v_fmac_f32_e32 v1, -0.5, v70
	v_add_f32_e32 v9, v52, v15
	v_add_f32_e32 v15, v62, v17
	;; [unrolled: 1-line block ×3, first 2 shown]
	v_fmamk_f32 v18, v19, 0xbf5db3d7, v4
	v_fmac_f32_e32 v4, 0x3f5db3d7, v19
	v_fmamk_f32 v19, v25, 0x3f5db3d7, v5
	v_fmac_f32_e32 v5, 0xbf5db3d7, v25
	v_add_f32_e32 v6, v26, v61
	v_fmamk_f32 v20, v28, 0xbf5db3d7, v10
	v_fmamk_f32 v21, v30, 0x3f5db3d7, v11
	v_fmac_f32_e32 v10, 0x3f5db3d7, v28
	v_fmac_f32_e32 v11, 0xbf5db3d7, v30
	v_add_f32_e32 v8, v31, v65
	v_add_f32_e32 v14, v58, v69
	;; [unrolled: 1-line block ×3, first 2 shown]
	v_fmamk_f32 v24, v35, 0xbf5db3d7, v12
	v_fmac_f32_e32 v12, 0x3f5db3d7, v35
	v_fmamk_f32 v25, v56, 0x3f5db3d7, v13
	v_fmac_f32_e32 v13, 0xbf5db3d7, v56
	;; [unrolled: 2-line block ×4, first 2 shown]
	v_fmamk_f32 v28, v67, 0xbf5db3d7, v0
	v_fmamk_f32 v29, v71, 0x3f5db3d7, v1
	v_fmac_f32_e32 v0, 0x3f5db3d7, v67
	v_fmac_f32_e32 v1, 0xbf5db3d7, v71
	ds_write2_b64 v36, v[2:3], v[18:19] offset1:16
	ds_write_b64 v36, v[4:5] offset:256
	ds_write2_b64 v38, v[6:7], v[20:21] offset1:16
	ds_write_b64 v38, v[10:11] offset:256
	;; [unrolled: 2-line block ×5, first 2 shown]
	s_waitcnt lgkmcnt(0)
	s_barrier
	buffer_gl0_inv
	ds_read2_b64 v[12:15], v50 offset1:112
	ds_read2_b64 v[36:39], v37 offset0:112 offset1:224
	ds_read2_b64 v[32:35], v48 offset0:96 offset1:208
	;; [unrolled: 1-line block ×6, first 2 shown]
                                        ; implicit-def: $vgpr5
                                        ; implicit-def: $vgpr9
                                        ; implicit-def: $vgpr49
	s_and_saveexec_b32 s1, s0
	s_cbranch_execz .LBB0_37
; %bb.36:
	v_add_nc_u32_e32 v0, 0x700, v50
	v_add_nc_u32_e32 v4, 0x1600, v50
	;; [unrolled: 1-line block ×3, first 2 shown]
	ds_read2_b64 v[0:3], v0 offset1:240
	ds_read_b64 v[48:49], v50 offset:13312
	ds_read2_b64 v[4:7], v4 offset1:240
	ds_read2_b64 v[8:11], v8 offset1:240
	s_waitcnt lgkmcnt(3)
	v_mov_b32_e32 v47, v3
	v_mov_b32_e32 v46, v2
.LBB0_37:
	s_or_b32 exec_lo, exec_lo, s1
	v_and_b32_e32 v2, 0xff, v42
	v_and_b32_e32 v3, 0xff, v51
	v_mov_b32_e32 v56, 6
	v_mov_b32_e32 v78, 0xa80
	;; [unrolled: 1-line block ×3, first 2 shown]
	v_mul_lo_u16 v2, 0xab, v2
	v_mul_lo_u16 v3, 0xab, v3
	v_lshrrev_b16 v2, 13, v2
	v_lshrrev_b16 v3, 13, v3
	v_mul_lo_u16 v52, v2, 48
	v_mul_lo_u16 v53, v3, 48
	v_mul_u32_u24_sdwa v2, v2, v78 dst_sel:DWORD dst_unused:UNUSED_PAD src0_sel:WORD_0 src1_sel:DWORD
	v_mul_u32_u24_sdwa v3, v3, v78 dst_sel:DWORD dst_unused:UNUSED_PAD src0_sel:WORD_0 src1_sel:DWORD
	v_sub_nc_u16 v76, v42, v52
	v_sub_nc_u16 v77, v51, v53
	v_mul_u32_u24_sdwa v52, v76, v56 dst_sel:DWORD dst_unused:UNUSED_PAD src0_sel:BYTE_0 src1_sel:DWORD
	v_mul_u32_u24_sdwa v61, v77, v56 dst_sel:DWORD dst_unused:UNUSED_PAD src0_sel:BYTE_0 src1_sel:DWORD
	v_lshlrev_b32_sdwa v76, v79, v76 dst_sel:DWORD dst_unused:UNUSED_PAD src0_sel:DWORD src1_sel:BYTE_0
	v_lshlrev_b32_sdwa v77, v79, v77 dst_sel:DWORD dst_unused:UNUSED_PAD src0_sel:DWORD src1_sel:BYTE_0
	v_lshlrev_b32_e32 v60, 3, v52
	v_lshlrev_b32_e32 v72, 3, v61
	v_add3_u32 v76, 0, v2, v76
	v_add3_u32 v77, 0, v3, v77
	s_clause 0x5
	global_load_dwordx4 v[52:55], v60, s[12:13] offset:368
	global_load_dwordx4 v[56:59], v60, s[12:13] offset:384
	;; [unrolled: 1-line block ×6, first 2 shown]
	s_waitcnt vmcnt(0) lgkmcnt(0)
	s_barrier
	buffer_gl0_inv
	v_mul_f32_e32 v80, v61, v21
	v_mul_f32_e32 v2, v53, v37
	;; [unrolled: 1-line block ×24, first 2 shown]
	v_fmac_f32_e32 v2, v52, v36
	v_fma_f32 v3, v52, v37, -v3
	v_fmac_f32_e32 v53, v54, v32
	v_fma_f32 v32, v54, v33, -v55
	;; [unrolled: 2-line block ×12, first 2 shown]
	v_add_f32_e32 v19, v2, v81
	v_add_f32_e32 v23, v3, v16
	v_sub_f32_e32 v3, v3, v16
	v_add_f32_e32 v16, v53, v80
	v_add_f32_e32 v27, v32, v20
	;; [unrolled: 1-line block ×3, first 2 shown]
	v_sub_f32_e32 v24, v24, v28
	v_add_f32_e32 v28, v82, v87
	v_add_f32_e32 v33, v17, v18
	v_sub_f32_e32 v17, v17, v18
	v_add_f32_e32 v18, v83, v86
	v_add_f32_e32 v35, v21, v22
	v_sub_f32_e32 v29, v53, v80
	v_sub_f32_e32 v20, v32, v20
	v_add_f32_e32 v30, v78, v79
	v_sub_f32_e32 v32, v79, v78
	v_sub_f32_e32 v21, v21, v22
	v_add_f32_e32 v22, v84, v85
	v_add_f32_e32 v37, v25, v26
	v_sub_f32_e32 v25, v26, v25
	v_add_f32_e32 v26, v16, v19
	v_add_f32_e32 v39, v27, v23
	v_sub_f32_e32 v2, v2, v81
	v_sub_f32_e32 v34, v82, v87
	v_sub_f32_e32 v36, v83, v86
	v_sub_f32_e32 v38, v85, v84
	v_add_f32_e32 v58, v18, v28
	v_add_f32_e32 v59, v35, v33
	v_sub_f32_e32 v52, v16, v19
	v_sub_f32_e32 v53, v27, v23
	;; [unrolled: 1-line block ×6, first 2 shown]
	v_add_f32_e32 v54, v32, v29
	v_add_f32_e32 v55, v24, v20
	v_sub_f32_e32 v56, v32, v29
	v_sub_f32_e32 v57, v24, v20
	;; [unrolled: 1-line block ×8, first 2 shown]
	v_add_f32_e32 v63, v25, v21
	v_sub_f32_e32 v65, v25, v21
	v_sub_f32_e32 v21, v21, v17
	v_add_f32_e32 v26, v30, v26
	v_add_f32_e32 v30, v31, v39
	v_sub_f32_e32 v29, v29, v2
	v_sub_f32_e32 v20, v20, v3
	v_add_f32_e32 v62, v38, v36
	v_sub_f32_e32 v64, v38, v36
	v_sub_f32_e32 v36, v36, v34
	v_add_f32_e32 v22, v22, v58
	v_add_f32_e32 v37, v37, v59
	v_sub_f32_e32 v32, v2, v32
	v_sub_f32_e32 v24, v3, v24
	;; [unrolled: 1-line block ×3, first 2 shown]
	v_add_f32_e32 v31, v54, v2
	v_add_f32_e32 v39, v55, v3
	v_mul_f32_e32 v19, 0x3f4a47b2, v19
	v_mul_f32_e32 v23, 0x3f4a47b2, v23
	;; [unrolled: 1-line block ×6, first 2 shown]
	v_add_f32_e32 v17, v63, v17
	v_mul_f32_e32 v28, 0x3f4a47b2, v28
	v_mul_f32_e32 v33, 0x3f4a47b2, v33
	;; [unrolled: 1-line block ×6, first 2 shown]
	v_add_f32_e32 v2, v26, v12
	v_add_f32_e32 v3, v30, v13
	v_sub_f32_e32 v38, v34, v38
	v_mul_f32_e32 v66, 0xbf5ff5aa, v29
	v_mul_f32_e32 v67, 0xbf5ff5aa, v20
	v_add_f32_e32 v34, v62, v34
	v_mul_f32_e32 v62, 0x3f08b237, v64
	v_mul_f32_e32 v64, 0xbf5ff5aa, v36
	v_add_f32_e32 v12, v22, v14
	v_add_f32_e32 v13, v37, v15
	v_fmamk_f32 v16, v16, 0x3d64c772, v19
	v_fmamk_f32 v27, v27, 0x3d64c772, v23
	v_fma_f32 v54, 0x3f3bfb3b, v52, -v54
	v_fma_f32 v55, 0x3f3bfb3b, v53, -v55
	;; [unrolled: 1-line block ×4, first 2 shown]
	v_fmamk_f32 v52, v32, 0xbeae86e6, v56
	v_fmamk_f32 v53, v24, 0xbeae86e6, v57
	v_fma_f32 v20, 0xbf5ff5aa, v20, -v57
	v_fmamk_f32 v14, v18, 0x3d64c772, v28
	v_fmamk_f32 v15, v35, 0x3d64c772, v33
	v_fma_f32 v18, 0x3f3bfb3b, v60, -v58
	v_fma_f32 v35, 0x3f3bfb3b, v61, -v59
	v_fmamk_f32 v57, v25, 0xbeae86e6, v63
	v_fma_f32 v58, 0xbf5ff5aa, v21, -v63
	v_fma_f32 v59, 0x3eae86e6, v25, -v65
	v_fmamk_f32 v21, v26, 0xbf955555, v2
	v_fmamk_f32 v25, v30, 0xbf955555, v3
	v_fma_f32 v29, 0xbf5ff5aa, v29, -v56
	v_fma_f32 v32, 0x3eae86e6, v32, -v66
	v_fma_f32 v24, 0x3eae86e6, v24, -v67
	v_fmamk_f32 v56, v38, 0xbeae86e6, v62
	v_fma_f32 v36, 0xbf5ff5aa, v36, -v62
	v_fma_f32 v38, 0x3eae86e6, v38, -v64
	v_fmamk_f32 v22, v22, 0xbf955555, v12
	v_fmamk_f32 v26, v37, 0xbf955555, v13
	v_fma_f32 v28, 0xbf3bfb3b, v60, -v28
	v_fma_f32 v33, 0xbf3bfb3b, v61, -v33
	v_fmac_f32_e32 v52, 0xbee1c552, v31
	v_fmac_f32_e32 v53, 0xbee1c552, v39
	v_add_f32_e32 v30, v16, v21
	v_add_f32_e32 v27, v27, v25
	v_fmac_f32_e32 v29, 0xbee1c552, v31
	v_fmac_f32_e32 v20, 0xbee1c552, v39
	;; [unrolled: 1-line block ×7, first 2 shown]
	v_add_f32_e32 v31, v54, v21
	v_add_f32_e32 v34, v55, v25
	;; [unrolled: 1-line block ×4, first 2 shown]
	v_fmac_f32_e32 v57, 0xbee1c552, v17
	v_add_f32_e32 v39, v14, v22
	v_add_f32_e32 v54, v15, v26
	v_fmac_f32_e32 v58, 0xbee1c552, v17
	v_fmac_f32_e32 v59, 0xbee1c552, v17
	v_add_f32_e32 v55, v18, v22
	v_add_f32_e32 v35, v35, v26
	;; [unrolled: 1-line block ×5, first 2 shown]
	v_sub_f32_e32 v15, v27, v52
	v_add_f32_e32 v16, v24, v37
	v_sub_f32_e32 v17, v23, v32
	v_sub_f32_e32 v18, v31, v20
	v_add_f32_e32 v19, v29, v34
	v_add_f32_e32 v20, v20, v31
	v_sub_f32_e32 v21, v34, v29
	v_sub_f32_e32 v22, v37, v24
	v_add_f32_e32 v23, v32, v23
	v_sub_f32_e32 v24, v30, v53
	v_add_f32_e32 v25, v52, v27
	v_add_f32_e32 v26, v57, v39
	v_sub_f32_e32 v27, v54, v56
	v_add_f32_e32 v28, v59, v60
	v_sub_f32_e32 v29, v61, v38
	v_sub_f32_e32 v30, v55, v58
	v_add_f32_e32 v31, v36, v35
	v_add_f32_e32 v32, v58, v55
	v_sub_f32_e32 v33, v35, v36
	v_sub_f32_e32 v34, v60, v59
	v_add_f32_e32 v35, v38, v61
	v_sub_f32_e32 v36, v39, v57
	v_add_f32_e32 v37, v56, v54
	ds_write2_b64 v76, v[2:3], v[14:15] offset1:48
	ds_write2_b64 v76, v[16:17], v[18:19] offset0:96 offset1:144
	ds_write2_b64 v76, v[20:21], v[22:23] offset0:192 offset1:240
	ds_write_b64 v76, v[24:25] offset:2304
	ds_write2_b64 v77, v[12:13], v[26:27] offset1:48
	ds_write2_b64 v77, v[28:29], v[30:31] offset0:96 offset1:144
	ds_write2_b64 v77, v[32:33], v[34:35] offset0:192 offset1:240
	ds_write_b64 v77, v[36:37] offset:2304
	s_and_saveexec_b32 s1, s0
	s_cbranch_execz .LBB0_39
; %bb.38:
	v_mov_b32_e32 v2, 0xaaab
	v_mul_u32_u24_sdwa v2, v43, v2 dst_sel:DWORD dst_unused:UNUSED_PAD src0_sel:WORD_0 src1_sel:DWORD
	v_lshrrev_b32_e32 v2, 21, v2
	v_mul_lo_u16 v2, v2, 48
	v_sub_nc_u16 v2, v43, v2
	v_and_b32_e32 v2, 0xffff, v2
	v_mul_u32_u24_e32 v3, 6, v2
	v_lshl_add_u32 v24, v2, 3, 0
	v_lshlrev_b32_e32 v3, 3, v3
	v_add_nc_u32_e32 v25, 0x2800, v24
	v_add_nc_u32_e32 v26, 0x3000, v24
	s_clause 0x2
	global_load_dwordx4 v[12:15], v3, s[12:13] offset:368
	global_load_dwordx4 v[16:19], v3, s[12:13] offset:400
	global_load_dwordx4 v[20:23], v3, s[12:13] offset:384
	s_waitcnt vmcnt(2)
	v_mul_f32_e32 v2, v47, v13
	s_waitcnt vmcnt(1)
	v_mul_f32_e32 v3, v49, v19
	;; [unrolled: 2-line block ×3, first 2 shown]
	v_mul_f32_e32 v28, v7, v21
	v_mul_f32_e32 v29, v5, v15
	;; [unrolled: 1-line block ×9, first 2 shown]
	v_fmac_f32_e32 v2, v46, v12
	v_fmac_f32_e32 v3, v48, v18
	;; [unrolled: 1-line block ×6, first 2 shown]
	v_fma_f32 v4, v49, v18, -v19
	v_fma_f32 v6, v47, v12, -v13
	;; [unrolled: 1-line block ×6, first 2 shown]
	v_sub_f32_e32 v10, v2, v3
	v_add_f32_e32 v13, v6, v4
	v_add_f32_e32 v2, v2, v3
	;; [unrolled: 1-line block ×4, first 2 shown]
	v_sub_f32_e32 v11, v27, v28
	v_sub_f32_e32 v12, v29, v30
	v_add_f32_e32 v14, v7, v8
	v_add_f32_e32 v3, v28, v27
	v_sub_f32_e32 v4, v6, v4
	v_sub_f32_e32 v6, v8, v7
	;; [unrolled: 1-line block ×3, first 2 shown]
	v_add_f32_e32 v18, v15, v13
	v_add_f32_e32 v21, v16, v2
	v_sub_f32_e32 v7, v10, v11
	v_sub_f32_e32 v8, v11, v12
	v_add_f32_e32 v9, v11, v12
	v_sub_f32_e32 v11, v13, v14
	v_sub_f32_e32 v17, v14, v15
	;; [unrolled: 1-line block ×6, first 2 shown]
	v_add_f32_e32 v6, v6, v5
	v_sub_f32_e32 v12, v12, v10
	v_add_f32_e32 v14, v14, v18
	v_add_f32_e32 v3, v3, v21
	v_sub_f32_e32 v5, v5, v4
	v_sub_f32_e32 v13, v15, v13
	v_mul_f32_e32 v8, 0x3f08b237, v8
	v_add_f32_e32 v9, v9, v10
	v_mul_f32_e32 v10, 0x3f4a47b2, v11
	v_mul_f32_e32 v15, 0x3f4a47b2, v19
	;; [unrolled: 1-line block ×3, first 2 shown]
	v_add_f32_e32 v4, v6, v4
	v_mul_f32_e32 v6, 0xbf5ff5aa, v12
	v_add_f32_e32 v1, v1, v14
	v_add_f32_e32 v0, v0, v3
	v_sub_f32_e32 v2, v16, v2
	v_mul_f32_e32 v11, 0x3d64c772, v17
	v_mul_f32_e32 v16, 0x3d64c772, v20
	;; [unrolled: 1-line block ×3, first 2 shown]
	v_fmamk_f32 v21, v7, 0xbeae86e6, v8
	v_fmamk_f32 v17, v17, 0x3d64c772, v10
	;; [unrolled: 1-line block ×4, first 2 shown]
	v_fma_f32 v6, 0x3eae86e6, v7, -v6
	v_fma_f32 v7, 0xbf3bfb3b, v13, -v10
	;; [unrolled: 1-line block ×3, first 2 shown]
	v_fmamk_f32 v5, v14, 0xbf955555, v1
	v_fmamk_f32 v3, v3, 0xbf955555, v0
	v_fma_f32 v10, 0xbf3bfb3b, v2, -v15
	v_fma_f32 v15, 0x3eae86e6, v22, -v19
	;; [unrolled: 1-line block ×5, first 2 shown]
	v_fmac_f32_e32 v21, 0xbee1c552, v9
	v_fmac_f32_e32 v23, 0xbee1c552, v4
	;; [unrolled: 1-line block ×3, first 2 shown]
	v_add_f32_e32 v12, v17, v5
	v_add_f32_e32 v14, v20, v3
	;; [unrolled: 1-line block ×3, first 2 shown]
	v_fmac_f32_e32 v15, 0xbee1c552, v4
	v_fmac_f32_e32 v8, 0xbee1c552, v9
	;; [unrolled: 1-line block ×3, first 2 shown]
	v_add_f32_e32 v10, v10, v3
	v_add_f32_e32 v9, v11, v5
	;; [unrolled: 1-line block ×5, first 2 shown]
	v_sub_f32_e32 v11, v13, v6
	v_sub_f32_e32 v13, v12, v21
	v_add_f32_e32 v12, v23, v14
	v_sub_f32_e32 v4, v10, v15
	v_sub_f32_e32 v7, v9, v8
	v_add_f32_e32 v9, v8, v9
	v_sub_f32_e32 v8, v2, v18
	v_add_f32_e32 v10, v15, v10
	v_add_f32_e32 v6, v18, v2
	v_sub_f32_e32 v2, v14, v23
	ds_write2_b64 v25, v[0:1], v[12:13] offset0:64 offset1:112
	ds_write2_b64 v25, v[10:11], v[8:9] offset0:160 offset1:208
	ds_write2_b64 v26, v[6:7], v[4:5] offset1:48
	ds_write_b64 v24, v[2:3] offset:13056
.LBB0_39:
	s_or_b32 exec_lo, exec_lo, s1
	v_lshlrev_b32_e32 v7, 2, v42
	v_mov_b32_e32 v8, 0
	s_waitcnt lgkmcnt(0)
	s_barrier
	buffer_gl0_inv
	v_add_nc_u32_e32 v9, 0x400, v50
	v_lshlrev_b64 v[0:1], 3, v[7:8]
	v_lshlrev_b32_e32 v7, 2, v51
	v_add_nc_u32_e32 v6, 0x2400, v50
	v_add_nc_u32_e32 v10, 0xc00, v50
	;; [unrolled: 1-line block ×4, first 2 shown]
	v_add_co_u32 v4, s0, s12, v0
	v_add_co_ci_u32_e64 v5, s0, s13, v1, s0
	v_lshlrev_b64 v[0:1], 3, v[7:8]
	v_add_co_u32 v2, s0, 0x800, v4
	v_add_co_ci_u32_e64 v3, s0, 0, v5, s0
	v_add_co_u32 v4, s0, 0xa70, v4
	v_add_co_ci_u32_e64 v5, s0, 0, v5, s0
	global_load_dwordx4 v[12:15], v[2:3], off offset:624
	v_lshlrev_b32_e32 v7, 2, v43
	v_add_nc_u32_e32 v43, 0x2c00, v50
	global_load_dwordx4 v[16:19], v[4:5], off offset:16
	v_add_co_u32 v2, s0, s12, v0
	v_add_co_ci_u32_e64 v3, s0, s13, v1, s0
	v_lshlrev_b64 v[4:5], 3, v[7:8]
	v_add_co_u32 v0, s0, 0x800, v2
	v_add_co_ci_u32_e64 v1, s0, 0, v3, s0
	v_add_co_u32 v2, s0, 0xa70, v2
	v_add_co_ci_u32_e64 v3, s0, 0, v3, s0
	s_clause 0x1
	global_load_dwordx4 v[20:23], v[0:1], off offset:624
	global_load_dwordx4 v[24:27], v[2:3], off offset:16
	v_add_co_u32 v2, s0, s12, v4
	v_add_co_ci_u32_e64 v3, s0, s13, v5, s0
	v_add_nc_u32_e32 v4, 0x1000, v50
	v_add_co_u32 v0, s0, 0x800, v2
	v_add_co_ci_u32_e64 v1, s0, 0, v3, s0
	v_add_co_u32 v2, s0, 0xa70, v2
	v_add_co_ci_u32_e64 v3, s0, 0, v3, s0
	s_clause 0x1
	global_load_dwordx4 v[28:31], v[0:1], off offset:624
	global_load_dwordx4 v[32:35], v[2:3], off offset:16
	v_add_nc_u32_e32 v5, 0x1c00, v50
	ds_read2_b64 v[0:3], v9 offset0:96 offset1:208
	ds_read2_b64 v[36:39], v4 offset0:48 offset1:160
	;; [unrolled: 1-line block ×4, first 2 shown]
	ds_read2_b64 v[4:7], v50 offset1:112
	ds_read2_b32 v[63:64], v10 offset0:128 offset1:129
	ds_read2_b64 v[55:58], v11 offset0:16 offset1:128
	ds_read2_b64 v[59:62], v43 offset0:48 offset1:160
	v_add_nc_u32_e32 v66, 0x2800, v50
	v_add_nc_u32_e32 v67, 0x2000, v50
	s_waitcnt vmcnt(0) lgkmcnt(0)
	s_barrier
	buffer_gl0_inv
	v_mul_f32_e32 v43, v13, v3
	v_mul_f32_e32 v13, v13, v2
	;; [unrolled: 1-line block ×8, first 2 shown]
	v_fmac_f32_e32 v43, v12, v2
	v_fma_f32 v2, v12, v3, -v13
	v_fmac_f32_e32 v68, v14, v38
	v_fma_f32 v3, v14, v39, -v15
	;; [unrolled: 2-line block ×4, first 2 shown]
	v_add_f32_e32 v54, v5, v2
	v_sub_f32_e32 v46, v43, v68
	v_mul_f32_e32 v12, v64, v21
	v_mul_f32_e32 v14, v21, v63
	;; [unrolled: 1-line block ×8, first 2 shown]
	v_fmac_f32_e32 v12, v20, v63
	v_fma_f32 v14, v64, v20, -v14
	v_fmac_f32_e32 v16, v55, v22
	v_fma_f32 v20, v56, v22, -v15
	;; [unrolled: 2-line block ×4, first 2 shown]
	v_mul_f32_e32 v18, v37, v29
	v_mul_f32_e32 v15, v36, v29
	;; [unrolled: 1-line block ×8, first 2 shown]
	v_add_f32_e32 v26, v4, v43
	v_add_f32_e32 v31, v68, v69
	;; [unrolled: 1-line block ×3, first 2 shown]
	v_sub_f32_e32 v49, v68, v43
	v_sub_f32_e32 v53, v69, v70
	v_add_f32_e32 v55, v3, v13
	v_add_f32_e32 v63, v2, v19
	v_sub_f32_e32 v35, v2, v19
	v_sub_f32_e32 v39, v3, v13
	;; [unrolled: 1-line block ×8, first 2 shown]
	v_fmac_f32_e32 v18, v36, v28
	v_fma_f32 v28, v37, v28, -v15
	v_fmac_f32_e32 v24, v57, v30
	v_fma_f32 v30, v58, v30, -v17
	;; [unrolled: 2-line block ×4, first 2 shown]
	v_add_f32_e32 v15, v26, v68
	v_fma_f32 v2, -0.5, v31, v4
	v_fma_f32 v4, -0.5, v48, v4
	v_add_f32_e32 v31, v49, v53
	v_add_f32_e32 v17, v54, v3
	v_fma_f32 v3, -0.5, v55, v5
	v_fma_f32 v5, -0.5, v63, v5
	v_add_f32_e32 v22, v6, v12
	v_add_f32_e32 v25, v16, v21
	v_sub_f32_e32 v48, v12, v16
	v_sub_f32_e32 v49, v38, v21
	;; [unrolled: 1-line block ×4, first 2 shown]
	v_add_f32_e32 v54, v7, v14
	v_sub_f32_e32 v62, v20, v14
	v_sub_f32_e32 v63, v23, v27
	v_add_f32_e32 v51, v12, v38
	v_add_f32_e32 v55, v20, v23
	;; [unrolled: 1-line block ×3, first 2 shown]
	v_sub_f32_e32 v43, v43, v70
	v_add_f32_e32 v26, v46, v47
	v_add_f32_e32 v36, v59, v60
	;; [unrolled: 1-line block ×3, first 2 shown]
	v_sub_f32_e32 v46, v14, v27
	v_sub_f32_e32 v57, v12, v38
	;; [unrolled: 1-line block ×5, first 2 shown]
	v_add_f32_e32 v64, v15, v69
	v_fmamk_f32 v12, v35, 0xbf737871, v2
	v_fmac_f32_e32 v2, 0x3f737871, v35
	v_fmamk_f32 v14, v39, 0x3f737871, v4
	v_fmac_f32_e32 v4, 0xbf737871, v39
	;; [unrolled: 2-line block ×3, first 2 shown]
	v_add_f32_e32 v22, v22, v16
	v_fma_f32 v16, -0.5, v25, v6
	v_add_f32_e32 v48, v48, v49
	v_add_f32_e32 v49, v52, v53
	;; [unrolled: 1-line block ×9, first 2 shown]
	v_sub_f32_e32 v47, v20, v23
	v_add_f32_e32 v68, v17, v13
	v_fma_f32 v6, -0.5, v51, v6
	v_fma_f32 v17, -0.5, v55, v7
	v_fmac_f32_e32 v7, -0.5, v61
	v_fmamk_f32 v13, v43, 0x3f737871, v3
	v_fmac_f32_e32 v3, 0xbf737871, v43
	v_add_f32_e32 v71, v1, v28
	v_add_f32_e32 v51, v59, v60
	v_sub_f32_e32 v55, v28, v34
	v_sub_f32_e32 v60, v18, v24
	v_sub_f32_e32 v61, v33, v29
	v_sub_f32_e32 v63, v24, v18
	v_sub_f32_e32 v73, v18, v33
	v_sub_f32_e32 v74, v24, v29
	v_sub_f32_e32 v75, v28, v30
	v_sub_f32_e32 v28, v30, v28
	v_sub_f32_e32 v78, v32, v34
	v_fmac_f32_e32 v12, 0xbf167918, v39
	v_fmac_f32_e32 v2, 0x3f167918, v39
	;; [unrolled: 1-line block ×6, first 2 shown]
	v_add_f32_e32 v35, v22, v21
	v_add_f32_e32 v39, v25, v23
	;; [unrolled: 1-line block ×3, first 2 shown]
	v_fma_f32 v24, -0.5, v54, v0
	v_fma_f32 v25, -0.5, v72, v1
	v_sub_f32_e32 v59, v30, v32
	v_fma_f32 v0, -0.5, v62, v0
	v_fmac_f32_e32 v1, -0.5, v77
	v_fmamk_f32 v22, v47, 0x3f737871, v6
	v_fmamk_f32 v23, v58, 0xbf737871, v7
	;; [unrolled: 1-line block ×3, first 2 shown]
	v_fmac_f32_e32 v16, 0x3f737871, v46
	v_fmamk_f32 v21, v57, 0x3f737871, v17
	v_fmac_f32_e32 v17, 0xbf737871, v57
	v_fmac_f32_e32 v13, 0x3f167918, v56
	v_fmac_f32_e32 v3, 0xbf167918, v56
	v_add_f32_e32 v56, v71, v30
	v_sub_f32_e32 v69, v29, v33
	v_sub_f32_e32 v76, v34, v32
	v_add_f32_e32 v53, v60, v61
	v_add_f32_e32 v61, v28, v78
	v_fmac_f32_e32 v12, 0x3e9e377a, v26
	v_fmac_f32_e32 v2, 0x3e9e377a, v26
	v_add_f32_e32 v26, v35, v38
	v_add_f32_e32 v35, v43, v29
	v_fmamk_f32 v28, v55, 0xbf737871, v24
	v_fmamk_f32 v29, v73, 0x3f737871, v25
	v_fmac_f32_e32 v14, 0x3e9e377a, v31
	v_fmac_f32_e32 v4, 0x3e9e377a, v31
	v_fmamk_f32 v30, v59, 0x3f737871, v0
	v_fmamk_f32 v31, v74, 0xbf737871, v1
	v_fmac_f32_e32 v6, 0xbf737871, v47
	v_fmac_f32_e32 v7, 0x3f737871, v58
	;; [unrolled: 1-line block ×12, first 2 shown]
	v_add_f32_e32 v36, v56, v32
	v_add_f32_e32 v60, v75, v76
	v_fmac_f32_e32 v20, 0xbf167918, v47
	v_fmac_f32_e32 v21, 0x3f167918, v58
	;; [unrolled: 1-line block ×4, first 2 shown]
	v_add_f32_e32 v54, v63, v69
	v_fmac_f32_e32 v30, 0xbf167918, v55
	v_fmac_f32_e32 v31, 0x3f167918, v73
	v_add_f32_e32 v18, v64, v70
	v_add_f32_e32 v19, v68, v19
	v_fmac_f32_e32 v15, 0x3e9e377a, v37
	v_fmac_f32_e32 v6, 0x3f167918, v46
	v_add_f32_e32 v27, v39, v27
	v_fmac_f32_e32 v7, 0xbf167918, v57
	v_fmac_f32_e32 v22, 0x3e9e377a, v49
	;; [unrolled: 1-line block ×9, first 2 shown]
	v_add_f32_e32 v32, v35, v33
	v_add_f32_e32 v33, v36, v34
	v_fmac_f32_e32 v20, 0x3e9e377a, v48
	v_fmac_f32_e32 v21, 0x3e9e377a, v51
	;; [unrolled: 1-line block ×9, first 2 shown]
	ds_write2_b64 v50, v[18:19], v[26:27] offset1:112
	v_fmac_f32_e32 v24, 0x3e9e377a, v53
	v_fmac_f32_e32 v0, 0x3e9e377a, v54
	;; [unrolled: 1-line block ×4, first 2 shown]
	ds_write2_b64 v65, v[14:15], v[22:23] offset0:32 offset1:144
	ds_write2_b64 v66, v[2:3], v[16:17] offset0:64 offset1:176
	;; [unrolled: 1-line block ×6, first 2 shown]
	ds_write_b64 v50, v[24:25] offset:12544
	s_waitcnt lgkmcnt(0)
	s_barrier
	buffer_gl0_inv
	s_and_saveexec_b32 s0, vcc_lo
	s_cbranch_execz .LBB0_41
; %bb.40:
	v_mul_lo_u32 v2, s3, v44
	v_mul_lo_u32 v3, s2, v45
	v_mad_u64_u32 v[0:1], null, s2, v44, 0
	v_lshl_add_u32 v6, v42, 3, 0
	v_mov_b32_e32 v43, v8
	v_lshlrev_b64 v[9:10], 3, v[40:41]
	v_add_nc_u32_e32 v7, 0x70, v42
	v_add_nc_u32_e32 v19, 0x1800, v6
	v_add3_u32 v1, v1, v3, v2
	v_lshlrev_b64 v[11:12], 3, v[42:43]
	v_lshlrev_b64 v[13:14], 3, v[7:8]
	v_add_nc_u32_e32 v7, 0xe0, v42
	v_lshlrev_b64 v[4:5], 3, v[0:1]
	ds_read2_b64 v[0:3], v6 offset1:112
	v_lshlrev_b64 v[15:16], 3, v[7:8]
	v_add_nc_u32_e32 v7, 0x150, v42
	v_add_co_u32 v4, vcc_lo, s10, v4
	v_add_co_ci_u32_e32 v5, vcc_lo, s11, v5, vcc_lo
	v_add_co_u32 v21, vcc_lo, v4, v9
	v_add_co_ci_u32_e32 v22, vcc_lo, v5, v10, vcc_lo
	v_add_nc_u32_e32 v9, 0x400, v6
	v_add_co_u32 v4, vcc_lo, v21, v11
	v_add_co_ci_u32_e32 v5, vcc_lo, v22, v12, vcc_lo
	ds_read2_b64 v[9:12], v9 offset0:96 offset1:208
	v_add_co_u32 v13, vcc_lo, v21, v13
	v_add_co_ci_u32_e32 v14, vcc_lo, v22, v14, vcc_lo
	s_waitcnt lgkmcnt(1)
	global_store_dwordx2 v[4:5], v[0:1], off
	global_store_dwordx2 v[13:14], v[2:3], off
	v_lshlrev_b64 v[0:1], 3, v[7:8]
	v_add_co_u32 v2, vcc_lo, v21, v15
	v_add_co_ci_u32_e32 v3, vcc_lo, v22, v16, vcc_lo
	v_add_nc_u32_e32 v7, 0x1c0, v42
	v_add_co_u32 v0, vcc_lo, v21, v0
	v_add_co_ci_u32_e32 v1, vcc_lo, v22, v1, vcc_lo
	v_add_nc_u32_e32 v13, 0xc00, v6
	v_lshlrev_b64 v[4:5], 3, v[7:8]
	s_waitcnt lgkmcnt(0)
	global_store_dwordx2 v[2:3], v[9:10], off
	v_add_nc_u32_e32 v9, 0x1400, v6
	v_add_nc_u32_e32 v7, 0x230, v42
	global_store_dwordx2 v[0:1], v[11:12], off
	ds_read2_b64 v[0:3], v13 offset0:64 offset1:176
	v_add_co_u32 v4, vcc_lo, v21, v4
	ds_read2_b64 v[9:12], v9 offset0:32 offset1:144
	v_lshlrev_b64 v[13:14], 3, v[7:8]
	v_add_nc_u32_e32 v7, 0x2a0, v42
	v_add_co_ci_u32_e32 v5, vcc_lo, v22, v5, vcc_lo
	v_lshlrev_b64 v[15:16], 3, v[7:8]
	v_add_co_u32 v13, vcc_lo, v21, v13
	v_add_co_ci_u32_e32 v14, vcc_lo, v22, v14, vcc_lo
	v_add_nc_u32_e32 v7, 0x310, v42
	v_add_co_u32 v15, vcc_lo, v21, v15
	v_add_co_ci_u32_e32 v16, vcc_lo, v22, v16, vcc_lo
	v_lshlrev_b64 v[17:18], 3, v[7:8]
	v_add_nc_u32_e32 v7, 0x380, v42
	s_waitcnt lgkmcnt(1)
	global_store_dwordx2 v[4:5], v[0:1], off
	global_store_dwordx2 v[13:14], v[2:3], off
	s_waitcnt lgkmcnt(0)
	global_store_dwordx2 v[15:16], v[9:10], off
	ds_read2_b64 v[0:3], v19 offset0:128 offset1:240
	v_lshlrev_b64 v[4:5], 3, v[7:8]
	v_add_nc_u32_e32 v7, 0x3f0, v42
	v_add_co_u32 v9, vcc_lo, v21, v17
	v_add_co_ci_u32_e32 v10, vcc_lo, v22, v18, vcc_lo
	v_lshlrev_b64 v[13:14], 3, v[7:8]
	v_add_nc_u32_e32 v7, 0x460, v42
	v_add_co_u32 v4, vcc_lo, v21, v4
	v_add_co_ci_u32_e32 v5, vcc_lo, v22, v5, vcc_lo
	v_add_co_u32 v13, vcc_lo, v21, v13
	v_lshlrev_b64 v[15:16], 3, v[7:8]
	v_add_nc_u32_e32 v7, 0x4d0, v42
	v_add_co_ci_u32_e32 v14, vcc_lo, v22, v14, vcc_lo
	v_add_nc_u32_e32 v17, 0x2000, v6
	global_store_dwordx2 v[9:10], v[11:12], off
	s_waitcnt lgkmcnt(0)
	global_store_dwordx2 v[4:5], v[0:1], off
	global_store_dwordx2 v[13:14], v[2:3], off
	v_lshlrev_b64 v[4:5], 3, v[7:8]
	v_add_nc_u32_e32 v7, 0x540, v42
	v_add_nc_u32_e32 v9, 0x2800, v6
	v_add_co_u32 v13, vcc_lo, v21, v15
	ds_read2_b64 v[0:3], v17 offset0:96 offset1:208
	v_add_co_ci_u32_e32 v14, vcc_lo, v22, v16, vcc_lo
	v_lshlrev_b64 v[15:16], 3, v[7:8]
	v_add_nc_u32_e32 v7, 0x5b0, v42
	ds_read2_b64 v[9:12], v9 offset0:64 offset1:176
	ds_read_b64 v[17:18], v6 offset:12544
	v_add_co_u32 v4, vcc_lo, v21, v4
	v_lshlrev_b64 v[19:20], 3, v[7:8]
	v_add_nc_u32_e32 v7, 0x620, v42
	v_add_co_ci_u32_e32 v5, vcc_lo, v22, v5, vcc_lo
	v_add_co_u32 v15, vcc_lo, v21, v15
	v_lshlrev_b64 v[6:7], 3, v[7:8]
	v_add_co_ci_u32_e32 v16, vcc_lo, v22, v16, vcc_lo
	v_add_co_u32 v19, vcc_lo, v21, v19
	v_add_co_ci_u32_e32 v20, vcc_lo, v22, v20, vcc_lo
	v_add_co_u32 v6, vcc_lo, v21, v6
	v_add_co_ci_u32_e32 v7, vcc_lo, v22, v7, vcc_lo
	s_waitcnt lgkmcnt(2)
	global_store_dwordx2 v[13:14], v[0:1], off
	global_store_dwordx2 v[4:5], v[2:3], off
	s_waitcnt lgkmcnt(1)
	global_store_dwordx2 v[15:16], v[9:10], off
	global_store_dwordx2 v[19:20], v[11:12], off
	s_waitcnt lgkmcnt(0)
	global_store_dwordx2 v[6:7], v[17:18], off
.LBB0_41:
	s_endpgm
	.section	.rodata,"a",@progbits
	.p2align	6, 0x0
	.amdhsa_kernel fft_rtc_back_len1680_factors_2_2_2_2_3_7_5_wgs_112_tpt_112_halfLds_sp_op_CI_CI_unitstride_sbrr_C2R_dirReg
		.amdhsa_group_segment_fixed_size 0
		.amdhsa_private_segment_fixed_size 0
		.amdhsa_kernarg_size 104
		.amdhsa_user_sgpr_count 6
		.amdhsa_user_sgpr_private_segment_buffer 1
		.amdhsa_user_sgpr_dispatch_ptr 0
		.amdhsa_user_sgpr_queue_ptr 0
		.amdhsa_user_sgpr_kernarg_segment_ptr 1
		.amdhsa_user_sgpr_dispatch_id 0
		.amdhsa_user_sgpr_flat_scratch_init 0
		.amdhsa_user_sgpr_private_segment_size 0
		.amdhsa_wavefront_size32 1
		.amdhsa_uses_dynamic_stack 0
		.amdhsa_system_sgpr_private_segment_wavefront_offset 0
		.amdhsa_system_sgpr_workgroup_id_x 1
		.amdhsa_system_sgpr_workgroup_id_y 0
		.amdhsa_system_sgpr_workgroup_id_z 0
		.amdhsa_system_sgpr_workgroup_info 0
		.amdhsa_system_vgpr_workitem_id 0
		.amdhsa_next_free_vgpr 88
		.amdhsa_next_free_sgpr 27
		.amdhsa_reserve_vcc 1
		.amdhsa_reserve_flat_scratch 0
		.amdhsa_float_round_mode_32 0
		.amdhsa_float_round_mode_16_64 0
		.amdhsa_float_denorm_mode_32 3
		.amdhsa_float_denorm_mode_16_64 3
		.amdhsa_dx10_clamp 1
		.amdhsa_ieee_mode 1
		.amdhsa_fp16_overflow 0
		.amdhsa_workgroup_processor_mode 1
		.amdhsa_memory_ordered 1
		.amdhsa_forward_progress 0
		.amdhsa_shared_vgpr_count 0
		.amdhsa_exception_fp_ieee_invalid_op 0
		.amdhsa_exception_fp_denorm_src 0
		.amdhsa_exception_fp_ieee_div_zero 0
		.amdhsa_exception_fp_ieee_overflow 0
		.amdhsa_exception_fp_ieee_underflow 0
		.amdhsa_exception_fp_ieee_inexact 0
		.amdhsa_exception_int_div_zero 0
	.end_amdhsa_kernel
	.text
.Lfunc_end0:
	.size	fft_rtc_back_len1680_factors_2_2_2_2_3_7_5_wgs_112_tpt_112_halfLds_sp_op_CI_CI_unitstride_sbrr_C2R_dirReg, .Lfunc_end0-fft_rtc_back_len1680_factors_2_2_2_2_3_7_5_wgs_112_tpt_112_halfLds_sp_op_CI_CI_unitstride_sbrr_C2R_dirReg
                                        ; -- End function
	.section	.AMDGPU.csdata,"",@progbits
; Kernel info:
; codeLenInByte = 11764
; NumSgprs: 29
; NumVgprs: 88
; ScratchSize: 0
; MemoryBound: 0
; FloatMode: 240
; IeeeMode: 1
; LDSByteSize: 0 bytes/workgroup (compile time only)
; SGPRBlocks: 3
; VGPRBlocks: 10
; NumSGPRsForWavesPerEU: 29
; NumVGPRsForWavesPerEU: 88
; Occupancy: 10
; WaveLimiterHint : 1
; COMPUTE_PGM_RSRC2:SCRATCH_EN: 0
; COMPUTE_PGM_RSRC2:USER_SGPR: 6
; COMPUTE_PGM_RSRC2:TRAP_HANDLER: 0
; COMPUTE_PGM_RSRC2:TGID_X_EN: 1
; COMPUTE_PGM_RSRC2:TGID_Y_EN: 0
; COMPUTE_PGM_RSRC2:TGID_Z_EN: 0
; COMPUTE_PGM_RSRC2:TIDIG_COMP_CNT: 0
	.text
	.p2alignl 6, 3214868480
	.fill 48, 4, 3214868480
	.type	__hip_cuid_5dccbae7c08b71ab,@object ; @__hip_cuid_5dccbae7c08b71ab
	.section	.bss,"aw",@nobits
	.globl	__hip_cuid_5dccbae7c08b71ab
__hip_cuid_5dccbae7c08b71ab:
	.byte	0                               ; 0x0
	.size	__hip_cuid_5dccbae7c08b71ab, 1

	.ident	"AMD clang version 19.0.0git (https://github.com/RadeonOpenCompute/llvm-project roc-6.4.0 25133 c7fe45cf4b819c5991fe208aaa96edf142730f1d)"
	.section	".note.GNU-stack","",@progbits
	.addrsig
	.addrsig_sym __hip_cuid_5dccbae7c08b71ab
	.amdgpu_metadata
---
amdhsa.kernels:
  - .args:
      - .actual_access:  read_only
        .address_space:  global
        .offset:         0
        .size:           8
        .value_kind:     global_buffer
      - .offset:         8
        .size:           8
        .value_kind:     by_value
      - .actual_access:  read_only
        .address_space:  global
        .offset:         16
        .size:           8
        .value_kind:     global_buffer
      - .actual_access:  read_only
        .address_space:  global
        .offset:         24
        .size:           8
        .value_kind:     global_buffer
      - .actual_access:  read_only
        .address_space:  global
        .offset:         32
        .size:           8
        .value_kind:     global_buffer
      - .offset:         40
        .size:           8
        .value_kind:     by_value
      - .actual_access:  read_only
        .address_space:  global
        .offset:         48
        .size:           8
        .value_kind:     global_buffer
      - .actual_access:  read_only
        .address_space:  global
        .offset:         56
        .size:           8
        .value_kind:     global_buffer
      - .offset:         64
        .size:           4
        .value_kind:     by_value
      - .actual_access:  read_only
        .address_space:  global
        .offset:         72
        .size:           8
        .value_kind:     global_buffer
      - .actual_access:  read_only
        .address_space:  global
        .offset:         80
        .size:           8
        .value_kind:     global_buffer
      - .actual_access:  read_only
        .address_space:  global
        .offset:         88
        .size:           8
        .value_kind:     global_buffer
      - .actual_access:  write_only
        .address_space:  global
        .offset:         96
        .size:           8
        .value_kind:     global_buffer
    .group_segment_fixed_size: 0
    .kernarg_segment_align: 8
    .kernarg_segment_size: 104
    .language:       OpenCL C
    .language_version:
      - 2
      - 0
    .max_flat_workgroup_size: 112
    .name:           fft_rtc_back_len1680_factors_2_2_2_2_3_7_5_wgs_112_tpt_112_halfLds_sp_op_CI_CI_unitstride_sbrr_C2R_dirReg
    .private_segment_fixed_size: 0
    .sgpr_count:     29
    .sgpr_spill_count: 0
    .symbol:         fft_rtc_back_len1680_factors_2_2_2_2_3_7_5_wgs_112_tpt_112_halfLds_sp_op_CI_CI_unitstride_sbrr_C2R_dirReg.kd
    .uniform_work_group_size: 1
    .uses_dynamic_stack: false
    .vgpr_count:     88
    .vgpr_spill_count: 0
    .wavefront_size: 32
    .workgroup_processor_mode: 1
amdhsa.target:   amdgcn-amd-amdhsa--gfx1030
amdhsa.version:
  - 1
  - 2
...

	.end_amdgpu_metadata
